;; amdgpu-corpus repo=ROCm/rocFFT kind=compiled arch=gfx950 opt=O3
	.text
	.amdgcn_target "amdgcn-amd-amdhsa--gfx950"
	.amdhsa_code_object_version 6
	.protected	fft_rtc_back_len308_factors_11_7_4_wgs_44_tpt_44_half_ip_CI_unitstride_sbrr_R2C_dirReg ; -- Begin function fft_rtc_back_len308_factors_11_7_4_wgs_44_tpt_44_half_ip_CI_unitstride_sbrr_R2C_dirReg
	.globl	fft_rtc_back_len308_factors_11_7_4_wgs_44_tpt_44_half_ip_CI_unitstride_sbrr_R2C_dirReg
	.p2align	8
	.type	fft_rtc_back_len308_factors_11_7_4_wgs_44_tpt_44_half_ip_CI_unitstride_sbrr_R2C_dirReg,@function
fft_rtc_back_len308_factors_11_7_4_wgs_44_tpt_44_half_ip_CI_unitstride_sbrr_R2C_dirReg: ; @fft_rtc_back_len308_factors_11_7_4_wgs_44_tpt_44_half_ip_CI_unitstride_sbrr_R2C_dirReg
; %bb.0:
	s_load_dwordx2 s[8:9], s[0:1], 0x50
	s_load_dwordx4 s[4:7], s[0:1], 0x0
	s_load_dwordx2 s[10:11], s[0:1], 0x18
	v_mul_u32_u24_e32 v1, 0x5d2, v0
	v_add_u32_sdwa v6, s2, v1 dst_sel:DWORD dst_unused:UNUSED_PAD src0_sel:DWORD src1_sel:WORD_1
	v_mov_b32_e32 v4, 0
	s_waitcnt lgkmcnt(0)
	v_cmp_lt_u64_e64 s[2:3], s[6:7], 2
	v_mov_b32_e32 v7, v4
	s_and_b64 vcc, exec, s[2:3]
	v_mov_b64_e32 v[2:3], 0
	s_cbranch_vccnz .LBB0_8
; %bb.1:
	s_load_dwordx2 s[2:3], s[0:1], 0x10
	s_add_u32 s12, s10, 8
	s_addc_u32 s13, s11, 0
	s_mov_b64 s[14:15], 1
	v_mov_b64_e32 v[2:3], 0
	s_waitcnt lgkmcnt(0)
	s_add_u32 s16, s2, 8
	s_addc_u32 s17, s3, 0
.LBB0_2:                                ; =>This Inner Loop Header: Depth=1
	s_load_dwordx2 s[18:19], s[16:17], 0x0
                                        ; implicit-def: $vgpr8_vgpr9
	s_waitcnt lgkmcnt(0)
	v_or_b32_e32 v5, s19, v7
	v_cmp_ne_u64_e32 vcc, 0, v[4:5]
	s_and_saveexec_b64 s[2:3], vcc
	s_xor_b64 s[20:21], exec, s[2:3]
	s_cbranch_execz .LBB0_4
; %bb.3:                                ;   in Loop: Header=BB0_2 Depth=1
	v_cvt_f32_u32_e32 v1, s18
	v_cvt_f32_u32_e32 v5, s19
	s_sub_u32 s2, 0, s18
	s_subb_u32 s3, 0, s19
	v_fmac_f32_e32 v1, 0x4f800000, v5
	v_rcp_f32_e32 v1, v1
	s_nop 0
	v_mul_f32_e32 v1, 0x5f7ffffc, v1
	v_mul_f32_e32 v5, 0x2f800000, v1
	v_trunc_f32_e32 v5, v5
	v_fmac_f32_e32 v1, 0xcf800000, v5
	v_cvt_u32_f32_e32 v5, v5
	v_cvt_u32_f32_e32 v1, v1
	v_mul_lo_u32 v8, s2, v5
	v_mul_hi_u32 v10, s2, v1
	v_mul_lo_u32 v9, s3, v1
	v_add_u32_e32 v10, v10, v8
	v_mul_lo_u32 v12, s2, v1
	v_add_u32_e32 v13, v10, v9
	v_mul_hi_u32 v8, v1, v12
	v_mul_hi_u32 v11, v1, v13
	v_mul_lo_u32 v10, v1, v13
	v_mov_b32_e32 v9, v4
	v_lshl_add_u64 v[8:9], v[8:9], 0, v[10:11]
	v_mul_hi_u32 v11, v5, v12
	v_mul_lo_u32 v12, v5, v12
	v_add_co_u32_e32 v8, vcc, v8, v12
	v_mul_hi_u32 v10, v5, v13
	s_nop 0
	v_addc_co_u32_e32 v8, vcc, v9, v11, vcc
	v_mov_b32_e32 v9, v4
	s_nop 0
	v_addc_co_u32_e32 v11, vcc, 0, v10, vcc
	v_mul_lo_u32 v10, v5, v13
	v_lshl_add_u64 v[8:9], v[8:9], 0, v[10:11]
	v_add_co_u32_e32 v1, vcc, v1, v8
	v_mul_lo_u32 v10, s2, v1
	s_nop 0
	v_addc_co_u32_e32 v5, vcc, v5, v9, vcc
	v_mul_lo_u32 v8, s2, v5
	v_mul_hi_u32 v9, s2, v1
	v_add_u32_e32 v8, v9, v8
	v_mul_lo_u32 v9, s3, v1
	v_add_u32_e32 v12, v8, v9
	v_mul_hi_u32 v14, v5, v10
	v_mul_lo_u32 v15, v5, v10
	v_mul_hi_u32 v9, v1, v12
	v_mul_lo_u32 v8, v1, v12
	v_mul_hi_u32 v10, v1, v10
	v_mov_b32_e32 v11, v4
	v_lshl_add_u64 v[8:9], v[10:11], 0, v[8:9]
	v_add_co_u32_e32 v8, vcc, v8, v15
	v_mul_hi_u32 v13, v5, v12
	s_nop 0
	v_addc_co_u32_e32 v8, vcc, v9, v14, vcc
	v_mul_lo_u32 v10, v5, v12
	s_nop 0
	v_addc_co_u32_e32 v11, vcc, 0, v13, vcc
	v_mov_b32_e32 v9, v4
	v_lshl_add_u64 v[8:9], v[8:9], 0, v[10:11]
	v_add_co_u32_e32 v1, vcc, v1, v8
	v_mul_hi_u32 v10, v6, v1
	s_nop 0
	v_addc_co_u32_e32 v5, vcc, v5, v9, vcc
	v_mad_u64_u32 v[8:9], s[2:3], v6, v5, 0
	v_mov_b32_e32 v11, v4
	v_lshl_add_u64 v[8:9], v[10:11], 0, v[8:9]
	v_mad_u64_u32 v[12:13], s[2:3], v7, v1, 0
	v_add_co_u32_e32 v1, vcc, v8, v12
	v_mad_u64_u32 v[10:11], s[2:3], v7, v5, 0
	s_nop 0
	v_addc_co_u32_e32 v8, vcc, v9, v13, vcc
	v_mov_b32_e32 v9, v4
	s_nop 0
	v_addc_co_u32_e32 v11, vcc, 0, v11, vcc
	v_lshl_add_u64 v[8:9], v[8:9], 0, v[10:11]
	v_mul_lo_u32 v1, s19, v8
	v_mul_lo_u32 v5, s18, v9
	v_mad_u64_u32 v[10:11], s[2:3], s18, v8, 0
	v_add3_u32 v1, v11, v5, v1
	v_sub_u32_e32 v5, v7, v1
	v_mov_b32_e32 v11, s19
	v_sub_co_u32_e32 v14, vcc, v6, v10
	v_lshl_add_u64 v[12:13], v[8:9], 0, 1
	s_nop 0
	v_subb_co_u32_e64 v5, s[2:3], v5, v11, vcc
	v_subrev_co_u32_e64 v10, s[2:3], s18, v14
	v_subb_co_u32_e32 v1, vcc, v7, v1, vcc
	s_nop 0
	v_subbrev_co_u32_e64 v5, s[2:3], 0, v5, s[2:3]
	v_cmp_le_u32_e64 s[2:3], s19, v5
	v_cmp_le_u32_e32 vcc, s19, v1
	s_nop 0
	v_cndmask_b32_e64 v11, 0, -1, s[2:3]
	v_cmp_le_u32_e64 s[2:3], s18, v10
	s_nop 1
	v_cndmask_b32_e64 v10, 0, -1, s[2:3]
	v_cmp_eq_u32_e64 s[2:3], s19, v5
	s_nop 1
	v_cndmask_b32_e64 v5, v11, v10, s[2:3]
	v_lshl_add_u64 v[10:11], v[8:9], 0, 2
	v_cmp_ne_u32_e64 s[2:3], 0, v5
	s_nop 1
	v_cndmask_b32_e64 v5, v13, v11, s[2:3]
	v_cndmask_b32_e64 v11, 0, -1, vcc
	v_cmp_le_u32_e32 vcc, s18, v14
	s_nop 1
	v_cndmask_b32_e64 v13, 0, -1, vcc
	v_cmp_eq_u32_e32 vcc, s19, v1
	s_nop 1
	v_cndmask_b32_e32 v1, v11, v13, vcc
	v_cmp_ne_u32_e32 vcc, 0, v1
	v_cndmask_b32_e64 v1, v12, v10, s[2:3]
	s_nop 0
	v_cndmask_b32_e32 v9, v9, v5, vcc
	v_cndmask_b32_e32 v8, v8, v1, vcc
.LBB0_4:                                ;   in Loop: Header=BB0_2 Depth=1
	s_andn2_saveexec_b64 s[2:3], s[20:21]
	s_cbranch_execz .LBB0_6
; %bb.5:                                ;   in Loop: Header=BB0_2 Depth=1
	v_cvt_f32_u32_e32 v1, s18
	s_sub_i32 s20, 0, s18
	v_rcp_iflag_f32_e32 v1, v1
	s_nop 0
	v_mul_f32_e32 v1, 0x4f7ffffe, v1
	v_cvt_u32_f32_e32 v1, v1
	v_mul_lo_u32 v5, s20, v1
	v_mul_hi_u32 v5, v1, v5
	v_add_u32_e32 v1, v1, v5
	v_mul_hi_u32 v1, v6, v1
	v_mul_lo_u32 v5, v1, s18
	v_sub_u32_e32 v5, v6, v5
	v_add_u32_e32 v8, 1, v1
	v_subrev_u32_e32 v9, s18, v5
	v_cmp_le_u32_e32 vcc, s18, v5
	s_nop 1
	v_cndmask_b32_e32 v5, v5, v9, vcc
	v_cndmask_b32_e32 v1, v1, v8, vcc
	v_add_u32_e32 v8, 1, v1
	v_cmp_le_u32_e32 vcc, s18, v5
	v_mov_b32_e32 v9, v4
	s_nop 0
	v_cndmask_b32_e32 v8, v1, v8, vcc
.LBB0_6:                                ;   in Loop: Header=BB0_2 Depth=1
	s_or_b64 exec, exec, s[2:3]
	v_mad_u64_u32 v[10:11], s[2:3], v8, s18, 0
	s_load_dwordx2 s[2:3], s[12:13], 0x0
	v_mul_lo_u32 v1, v9, s18
	v_mul_lo_u32 v5, v8, s19
	v_add3_u32 v1, v11, v5, v1
	v_sub_co_u32_e32 v5, vcc, v6, v10
	s_add_u32 s14, s14, 1
	s_nop 0
	v_subb_co_u32_e32 v1, vcc, v7, v1, vcc
	s_addc_u32 s15, s15, 0
	s_waitcnt lgkmcnt(0)
	v_mul_lo_u32 v1, s2, v1
	v_mul_lo_u32 v6, s3, v5
	v_mad_u64_u32 v[2:3], s[2:3], s2, v5, v[2:3]
	s_add_u32 s12, s12, 8
	v_add3_u32 v3, v6, v3, v1
	s_addc_u32 s13, s13, 0
	v_mov_b64_e32 v[6:7], s[6:7]
	s_add_u32 s16, s16, 8
	v_cmp_ge_u64_e32 vcc, s[14:15], v[6:7]
	s_addc_u32 s17, s17, 0
	s_cbranch_vccnz .LBB0_9
; %bb.7:                                ;   in Loop: Header=BB0_2 Depth=1
	v_mov_b64_e32 v[6:7], v[8:9]
	s_branch .LBB0_2
.LBB0_8:
	v_mov_b64_e32 v[8:9], v[6:7]
.LBB0_9:
	s_lshl_b64 s[2:3], s[6:7], 3
	s_add_u32 s2, s10, s2
	s_addc_u32 s3, s11, s3
	s_load_dwordx2 s[6:7], s[2:3], 0x0
	s_load_dwordx2 s[10:11], s[0:1], 0x20
	s_waitcnt lgkmcnt(0)
	v_mad_u64_u32 v[4:5], s[0:1], s6, v8, v[2:3]
	v_mul_lo_u32 v1, s6, v9
	v_mul_lo_u32 v6, s7, v8
	s_mov_b32 s0, 0x5d1745e
	v_add3_u32 v5, v6, v5, v1
	v_mul_hi_u32 v1, v0, s0
	v_mul_u32_u24_e32 v1, 44, v1
	v_sub_u32_e32 v2, v0, v1
	v_cmp_gt_u64_e32 vcc, s[10:11], v[8:9]
	v_lshl_add_u64 v[0:1], v[4:5], 2, s[8:9]
	v_lshl_add_u32 v16, v2, 2, 0
	s_and_saveexec_b64 s[0:1], vcc
	s_cbranch_execz .LBB0_11
; %bb.10:
	v_mov_b32_e32 v3, 0
	v_lshl_add_u64 v[4:5], v[2:3], 2, v[0:1]
	global_load_dword v3, v[4:5], off
	global_load_dword v6, v[4:5], off offset:176
	global_load_dword v7, v[4:5], off offset:352
	;; [unrolled: 1-line block ×6, first 2 shown]
	s_waitcnt vmcnt(5)
	ds_write2_b32 v16, v3, v6 offset1:44
	s_waitcnt vmcnt(3)
	ds_write2_b32 v16, v7, v8 offset0:88 offset1:132
	s_waitcnt vmcnt(1)
	ds_write2_b32 v16, v9, v10 offset0:176 offset1:220
	s_waitcnt vmcnt(0)
	ds_write_b32 v16, v11 offset:1056
.LBB0_11:
	s_or_b64 exec, exec, s[0:1]
	s_waitcnt lgkmcnt(0)
	; wave barrier
	s_waitcnt lgkmcnt(0)
	ds_read2_b32 v[6:7], v16 offset1:28
	ds_read_b32 v4, v16 offset:1120
	ds_read2_b32 v[12:13], v16 offset0:56 offset1:84
	ds_read2_b32 v[8:9], v16 offset0:224 offset1:252
	;; [unrolled: 1-line block ×4, first 2 shown]
	s_waitcnt lgkmcnt(4)
	v_pk_add_f16 v23, v7, v4 neg_lo:[0,1] neg_hi:[0,1]
	s_mov_b32 s10, 0xba0c
	v_pk_add_f16 v22, v4, v7
	s_waitcnt lgkmcnt(2)
	v_pk_add_f16 v24, v12, v9 neg_lo:[0,1] neg_hi:[0,1]
	v_pk_mul_f16 v3, v23, s10 op_sel_hi:[1,0]
	s_mov_b32 s6, 0xb93d
	s_movk_i32 s15, 0x3beb
	v_pk_add_f16 v21, v9, v12
	v_pk_add_f16 v25, v13, v8 neg_lo:[0,1] neg_hi:[0,1]
	v_pk_fma_f16 v27, v22, s6, v3 op_sel:[0,0,1] op_sel_hi:[1,0,0] neg_lo:[0,0,1] neg_hi:[0,0,1]
	v_pk_fma_f16 v28, v22, s6, v3 op_sel:[0,0,1] op_sel_hi:[1,0,0]
	v_pk_mul_f16 v3, v24, s15 op_sel_hi:[1,0]
	s_mov_b32 s8, 0xb08e
	s_mov_b32 s12, 0xb853
	v_pk_add_f16 v20, v8, v13
	s_waitcnt lgkmcnt(0)
	v_pk_add_f16 v26, v14, v11 neg_lo:[0,1] neg_hi:[0,1]
	v_pk_fma_f16 v29, v21, s8, v3 op_sel:[0,0,1] op_sel_hi:[1,0,0] neg_lo:[0,0,1] neg_hi:[0,0,1]
	v_pk_fma_f16 v30, v21, s8, v3 op_sel:[0,0,1] op_sel_hi:[1,0,0]
	v_pk_mul_f16 v3, v25, s12 op_sel_hi:[1,0]
	s_movk_i32 s11, 0x3abb
	s_mov_b32 s9, 0xb482
	v_pk_add_f16 v18, v11, v14
	v_pk_add_f16 v19, v15, v10 neg_lo:[0,1] neg_hi:[0,1]
	v_pk_fma_f16 v31, v20, s11, v3 op_sel:[0,0,1] op_sel_hi:[1,0,0] neg_lo:[0,0,1] neg_hi:[0,0,1]
	v_pk_fma_f16 v32, v20, s11, v3 op_sel:[0,0,1] op_sel_hi:[1,0,0]
	v_pk_mul_f16 v3, v26, s9 op_sel_hi:[1,0]
	s_mov_b32 s7, 0xbbad
	s_movk_i32 s14, 0x3b47
	v_pk_add_f16 v17, v10, v15
	v_pk_fma_f16 v33, v18, s7, v3 op_sel:[0,0,1] op_sel_hi:[1,0,0] neg_lo:[0,0,1] neg_hi:[0,0,1]
	v_pk_fma_f16 v34, v18, s7, v3 op_sel:[0,0,1] op_sel_hi:[1,0,0]
	v_pk_mul_f16 v3, v19, s14 op_sel_hi:[1,0]
	s_movk_i32 s13, 0x36a6
	v_pk_fma_f16 v35, v17, s13, v3 op_sel:[0,0,1] op_sel_hi:[1,0,0] neg_lo:[0,0,1] neg_hi:[0,0,1]
	v_add_f16_e32 v5, v6, v27
	v_pk_fma_f16 v36, v17, s13, v3 op_sel:[0,0,1] op_sel_hi:[1,0,0]
	v_add_f16_sdwa v3, v6, v28 dst_sel:DWORD dst_unused:UNUSED_PAD src0_sel:WORD_1 src1_sel:WORD_1
	v_add_f16_e32 v5, v29, v5
	v_add_f16_sdwa v3, v30, v3 dst_sel:DWORD dst_unused:UNUSED_PAD src0_sel:WORD_1 src1_sel:DWORD
	v_add_f16_e32 v5, v31, v5
	v_add_f16_sdwa v3, v32, v3 dst_sel:DWORD dst_unused:UNUSED_PAD src0_sel:WORD_1 src1_sel:DWORD
	;; [unrolled: 2-line block ×4, first 2 shown]
	v_cmp_gt_u32_e64 s[0:1], 28, v2
	s_waitcnt lgkmcnt(0)
	; wave barrier
	s_and_saveexec_b64 s[2:3], s[0:1]
	s_cbranch_execz .LBB0_13
; %bb.12:
	s_mov_b32 s0, 0xffff
	v_bfi_b32 v27, s0, v28, v27
	v_bfi_b32 v28, s0, v30, v29
	v_bfi_b32 v29, s0, v32, v31
	v_mul_f16_sdwa v32, v22, s8 dst_sel:DWORD dst_unused:UNUSED_PAD src0_sel:WORD_1 src1_sel:DWORD
	v_bfi_b32 v30, s0, v34, v33
	v_fma_f16 v33, v23, s15, v32
	v_mul_f16_sdwa v34, v21, s7 dst_sel:DWORD dst_unused:UNUSED_PAD src0_sel:WORD_1 src1_sel:DWORD
	v_bfi_b32 v31, s0, v36, v35
	v_add_f16_sdwa v33, v6, v33 dst_sel:DWORD dst_unused:UNUSED_PAD src0_sel:WORD_1 src1_sel:DWORD
	v_fma_f16 v35, v24, s9, v34
	v_add_f16_e32 v33, v35, v33
	v_mul_f16_sdwa v35, v20, s13 dst_sel:DWORD dst_unused:UNUSED_PAD src0_sel:WORD_1 src1_sel:DWORD
	s_mov_b32 s1, 0xbb47
	v_fma_f16 v36, v25, s1, v35
	v_add_f16_e32 v33, v36, v33
	v_mul_f16_sdwa v36, v18, s11 dst_sel:DWORD dst_unused:UNUSED_PAD src0_sel:WORD_1 src1_sel:DWORD
	s_movk_i32 s16, 0x3853
	v_fma_f16 v37, v26, s16, v36
	v_add_f16_e32 v33, v37, v33
	v_mul_f16_sdwa v37, v17, s6 dst_sel:DWORD dst_unused:UNUSED_PAD src0_sel:WORD_1 src1_sel:DWORD
	s_movk_i32 s17, 0x3a0c
	v_fma_f16 v38, v19, s17, v37
	s_mov_b32 s17, 0xbbeb
	v_add_f16_e32 v33, v38, v33
	v_mul_f16_sdwa v38, v23, s17 dst_sel:DWORD dst_unused:UNUSED_PAD src0_sel:WORD_1 src1_sel:DWORD
	s_movk_i32 s18, 0x3482
	v_fma_f16 v39, v22, s8, v38
	v_mul_f16_sdwa v40, v24, s18 dst_sel:DWORD dst_unused:UNUSED_PAD src0_sel:WORD_1 src1_sel:DWORD
	v_add_f16_e32 v39, v6, v39
	v_fma_f16 v41, v21, s7, v40
	v_add_f16_e32 v39, v41, v39
	v_mul_f16_sdwa v41, v25, s14 dst_sel:DWORD dst_unused:UNUSED_PAD src0_sel:WORD_1 src1_sel:DWORD
	v_pk_add_f16 v7, v6, v7
	v_fma_f16 v42, v20, s13, v41
	v_pk_add_f16 v7, v7, v12
	v_add_f16_e32 v39, v42, v39
	v_mul_f16_sdwa v42, v26, s12 dst_sel:DWORD dst_unused:UNUSED_PAD src0_sel:WORD_1 src1_sel:DWORD
	v_pk_add_f16 v7, v7, v13
	v_fma_f16 v43, v18, s11, v42
	v_pk_add_f16 v7, v7, v14
	v_add_f16_e32 v39, v43, v39
	v_mul_f16_sdwa v43, v19, s10 dst_sel:DWORD dst_unused:UNUSED_PAD src0_sel:WORD_1 src1_sel:DWORD
	v_pk_add_f16 v7, v7, v15
	v_fma_f16 v44, v17, s6, v43
	v_pk_add_f16 v7, v7, v10
	v_add_f16_e32 v39, v44, v39
	v_pk_mul_f16 v44, v23, s1 op_sel_hi:[1,0]
	v_pk_add_f16 v7, v7, v11
	v_fma_f16 v10, v23, s17, v32
	v_pk_mul_f16 v45, v24, s10 op_sel_hi:[1,0]
	v_add_f16_sdwa v10, v6, v10 dst_sel:DWORD dst_unused:UNUSED_PAD src0_sel:WORD_1 src1_sel:DWORD
	v_fma_f16 v11, v24, s18, v34
	v_pk_add_f16 v7, v7, v8
	v_pk_fma_f16 v8, v22, s13, v44 op_sel:[0,0,1] op_sel_hi:[1,0,0]
	v_pk_fma_f16 v13, v22, s13, v44 op_sel:[0,0,1] op_sel_hi:[1,0,0] neg_lo:[0,0,1] neg_hi:[0,0,1]
	v_add_f16_e32 v10, v11, v10
	v_fma_f16 v11, v25, s14, v35
	v_bfi_b32 v14, s0, v8, v13
	v_pk_fma_f16 v15, v21, s6, v45 op_sel:[0,0,1] op_sel_hi:[1,0,0]
	v_pk_fma_f16 v32, v21, s6, v45 op_sel:[0,0,1] op_sel_hi:[1,0,0] neg_lo:[0,0,1] neg_hi:[0,0,1]
	v_pk_mul_f16 v46, v25, s18 op_sel_hi:[1,0]
	v_add_f16_e32 v10, v11, v10
	v_fma_f16 v11, v26, s12, v36
	v_pk_add_f16 v14, v6, v14
	v_bfi_b32 v34, s0, v15, v32
	v_add_f16_e32 v10, v11, v10
	v_fma_f16 v11, v19, s10, v37
	v_pk_add_f16 v14, v34, v14
	v_pk_fma_f16 v34, v20, s7, v46 op_sel:[0,0,1] op_sel_hi:[1,0,0]
	v_pk_fma_f16 v35, v20, s7, v46 op_sel:[0,0,1] op_sel_hi:[1,0,0] neg_lo:[0,0,1] neg_hi:[0,0,1]
	v_pk_mul_f16 v47, v26, s15 op_sel_hi:[1,0]
	v_add_f16_e32 v10, v11, v10
	v_fma_f16 v11, v22, s8, -v38
	v_bfi_b32 v36, s0, v34, v35
	v_add_f16_e32 v11, v6, v11
	v_fma_f16 v12, v21, s7, -v40
	v_pk_add_f16 v14, v36, v14
	v_pk_fma_f16 v36, v18, s8, v47 op_sel:[0,0,1] op_sel_hi:[1,0,0]
	v_pk_fma_f16 v37, v18, s8, v47 op_sel:[0,0,1] op_sel_hi:[1,0,0] neg_lo:[0,0,1] neg_hi:[0,0,1]
	v_pk_mul_f16 v48, v19, s16 op_sel_hi:[1,0]
	v_add_f16_e32 v11, v12, v11
	v_fma_f16 v12, v20, s13, -v41
	v_bfi_b32 v38, s0, v36, v37
	v_add_f16_e32 v11, v12, v11
	v_fma_f16 v12, v18, s11, -v42
	v_pk_add_f16 v14, v38, v14
	v_pk_fma_f16 v38, v17, s11, v48 op_sel:[0,0,1] op_sel_hi:[1,0,0]
	v_pk_fma_f16 v40, v17, s11, v48 op_sel:[0,0,1] op_sel_hi:[1,0,0] neg_lo:[0,0,1] neg_hi:[0,0,1]
	v_add_f16_e32 v11, v12, v11
	v_fma_f16 v12, v17, s6, -v43
	v_bfi_b32 v41, s0, v38, v40
	v_add_f16_e32 v11, v12, v11
	v_mad_u32_u24 v12, v2, 40, v16
	v_pk_add_f16 v14, v41, v14
	v_pack_b32_f16 v33, v39, v33
	ds_write2_b32 v12, v14, v33 offset0:2 offset1:3
	v_pk_add_f16 v14, v6, v27
	v_pk_mul_f16 v39, v18, s13 op_sel_hi:[1,0]
	v_pk_add_f16 v14, v28, v14
	v_pk_fma_f16 v41, v26, s14, v39 op_sel:[0,0,1] op_sel_hi:[1,0,0]
	v_pk_add_f16 v14, v29, v14
	v_pk_mul_f16 v29, v21, s11 op_sel_hi:[1,0]
	v_pk_add_f16 v14, v30, v14
	v_pk_fma_f16 v30, v24, s16, v29 op_sel:[0,0,1] op_sel_hi:[1,0,0]
	v_pk_add_f16 v14, v31, v14
	ds_write_b32 v12, v14 offset:16
	v_pk_mul_f16 v14, v22, s7 op_sel_hi:[1,0]
	v_pk_mul_f16 v31, v20, s6 op_sel_hi:[1,0]
	v_pk_fma_f16 v27, v23, s9, v14 op_sel:[0,0,1] op_sel_hi:[1,0,0]
	v_pk_fma_f16 v14, v23, s9, v14 op_sel:[0,0,1] op_sel_hi:[1,0,0] neg_lo:[1,0,0] neg_hi:[1,0,0]
	v_pk_fma_f16 v29, v24, s16, v29 op_sel:[0,0,1] op_sel_hi:[1,0,0] neg_lo:[1,0,0] neg_hi:[1,0,0]
	v_pk_add_f16 v14, v6, v14 op_sel:[1,0] op_sel_hi:[0,1]
	v_pk_add_f16 v14, v29, v14
	v_pk_fma_f16 v29, v25, s10, v31 op_sel:[0,0,1] op_sel_hi:[1,0,0] neg_lo:[1,0,0] neg_hi:[1,0,0]
	v_pack_b32_f16 v10, v11, v10
	v_pk_add_f16 v14, v29, v14
	v_pk_fma_f16 v29, v26, s14, v39 op_sel:[0,0,1] op_sel_hi:[1,0,0] neg_lo:[1,0,0] neg_hi:[1,0,0]
	s_mov_b32 s14, 0x5040100
	v_perm_b32 v11, v3, v5, s14
	v_bfi_b32 v8, s0, v13, v8
	ds_write2_b32 v12, v11, v10 offset0:7 offset1:8
	v_pk_add_f16 v8, v6, v8
	v_bfi_b32 v10, s0, v32, v15
	v_alignbit_b32 v28, s0, v6, 16
	v_pk_mul_f16 v42, v17, s8 op_sel_hi:[1,0]
	v_pk_add_f16 v8, v10, v8
	v_bfi_b32 v10, s0, v35, v34
	v_pk_add_f16 v28, v28, v27
	v_pk_add_f16 v14, v29, v14
	v_pk_fma_f16 v29, v19, s17, v42 op_sel:[0,0,1] op_sel_hi:[1,0,0] neg_lo:[1,0,0] neg_hi:[1,0,0]
	v_alignbit_b32 v27, s0, v27, 16
	v_pk_add_f16 v8, v10, v8
	v_bfi_b32 v10, s0, v37, v36
	v_pk_fma_f16 v33, v25, s10, v31 op_sel:[0,0,1] op_sel_hi:[1,0,0]
	v_pk_add_f16 v14, v29, v14
	v_pk_add_f16 v27, v6, v27
	v_alignbit_b32 v29, s0, v30, 16
	v_pk_add_f16 v8, v10, v8
	v_bfi_b32 v10, s0, v40, v38
	v_pk_add_f16 v28, v30, v28
	v_pk_add_f16 v27, v29, v27
	v_alignbit_b32 v29, s0, v33, 16
	v_pk_add_f16 v8, v10, v8
	v_pk_mul_f16 v10, v23, s12 op_sel_hi:[1,0]
	v_pk_add_f16 v28, v33, v28
	v_pk_fma_f16 v43, v19, s17, v42 op_sel:[0,0,1] op_sel_hi:[1,0,0]
	v_pk_add_f16 v27, v29, v27
	v_alignbit_b32 v29, s0, v41, 16
	v_pk_mul_f16 v11, v24, s1 op_sel_hi:[1,0]
	v_pk_fma_f16 v15, v22, s11, v10 op_sel:[0,0,1] op_sel_hi:[1,0,0]
	v_pk_fma_f16 v10, v22, s11, v10 op_sel:[0,0,1] op_sel_hi:[1,0,0] neg_lo:[0,0,1] neg_hi:[0,0,1]
	v_pk_add_f16 v28, v41, v28
	v_pk_add_f16 v27, v29, v27
	v_alignbit_b32 v29, s0, v43, 16
	v_bfi_b32 v22, s0, v15, v10
	v_pk_fma_f16 v23, v21, s13, v11 op_sel:[0,0,1] op_sel_hi:[1,0,0]
	v_pk_fma_f16 v11, v21, s13, v11 op_sel:[0,0,1] op_sel_hi:[1,0,0] neg_lo:[0,0,1] neg_hi:[0,0,1]
	v_pk_add_f16 v28, v43, v28
	v_pk_add_f16 v27, v29, v27
	v_pk_mul_f16 v13, v25, s17 op_sel_hi:[1,0]
	v_pk_add_f16 v22, v6, v22
	v_bfi_b32 v21, s0, v23, v11
	v_alignbit_b32 v28, v28, v14, 16
	v_pack_b32_f16 v14, v27, v14
	v_pk_add_f16 v21, v21, v22
	v_pk_fma_f16 v22, v20, s8, v13 op_sel:[0,0,1] op_sel_hi:[1,0,0]
	v_pk_fma_f16 v13, v20, s8, v13 op_sel:[0,0,1] op_sel_hi:[1,0,0] neg_lo:[0,0,1] neg_hi:[0,0,1]
	v_bfi_b32 v10, s0, v10, v15
	ds_write2_b32 v12, v14, v28 offset0:5 offset1:6
	v_pk_mul_f16 v14, v26, s10 op_sel_hi:[1,0]
	v_bfi_b32 v20, s0, v22, v13
	v_pk_add_f16 v6, v6, v10
	v_bfi_b32 v10, s0, v11, v23
	v_pk_add_f16 v20, v20, v21
	v_pk_fma_f16 v21, v18, s6, v14 op_sel:[0,0,1] op_sel_hi:[1,0,0]
	v_pk_fma_f16 v14, v18, s6, v14 op_sel:[0,0,1] op_sel_hi:[1,0,0] neg_lo:[0,0,1] neg_hi:[0,0,1]
	v_pk_add_f16 v6, v10, v6
	v_bfi_b32 v10, s0, v13, v22
	v_pk_mul_f16 v19, v19, s9 op_sel_hi:[1,0]
	v_pk_add_f16 v6, v10, v6
	v_bfi_b32 v10, s0, v14, v21
	v_bfi_b32 v18, s0, v21, v14
	v_pk_add_f16 v6, v10, v6
	v_pk_add_f16 v7, v7, v9
	v_pk_fma_f16 v9, v17, s7, v19 op_sel:[0,0,1] op_sel_hi:[1,0,0] neg_lo:[0,0,1] neg_hi:[0,0,1]
	v_pk_fma_f16 v10, v17, s7, v19 op_sel:[0,0,1] op_sel_hi:[1,0,0]
	v_pk_add_f16 v18, v18, v20
	v_bfi_b32 v11, s0, v10, v9
	v_pk_add_f16 v11, v11, v18
	v_pk_add_f16 v4, v7, v4
	v_bfi_b32 v7, s0, v9, v10
	v_pk_add_f16 v6, v7, v6
	ds_write2_b32 v12, v4, v11 offset1:1
	ds_write2_b32 v12, v8, v6 offset0:9 offset1:10
.LBB0_13:
	s_or_b64 exec, exec, s[2:3]
	s_movk_i32 s0, 0x75
	v_mul_lo_u16_sdwa v4, v2, s0 dst_sel:DWORD dst_unused:UNUSED_PAD src0_sel:BYTE_0 src1_sel:DWORD
	v_sub_u16_sdwa v6, v2, v4 dst_sel:DWORD dst_unused:UNUSED_PAD src0_sel:DWORD src1_sel:BYTE_1
	v_lshrrev_b16_e32 v6, 1, v6
	v_and_b32_e32 v6, 0x7f, v6
	v_add_u16_sdwa v4, v6, v4 dst_sel:DWORD dst_unused:UNUSED_PAD src0_sel:DWORD src1_sel:BYTE_1
	v_lshrrev_b16_e32 v17, 3, v4
	v_mul_lo_u16_e32 v4, 11, v17
	v_sub_u16_e32 v20, v2, v4
	v_mov_b32_e32 v4, 6
	v_mul_u32_u24_sdwa v4, v20, v4 dst_sel:DWORD dst_unused:UNUSED_PAD src0_sel:BYTE_0 src1_sel:DWORD
	v_lshlrev_b32_e32 v4, 2, v4
	s_waitcnt lgkmcnt(0)
	; wave barrier
	s_waitcnt lgkmcnt(0)
	global_load_dwordx4 v[6:9], v4, s[4:5]
	global_load_dwordx2 v[10:11], v4, s[4:5] offset:16
	ds_read2_b32 v[12:13], v16 offset1:44
	ds_read2_b32 v[14:15], v16 offset0:88 offset1:132
	ds_read2_b32 v[18:19], v16 offset0:176 offset1:220
	ds_read_b32 v4, v16 offset:1056
	s_mov_b32 s1, 0x7060302
	s_mov_b32 s2, 0xffff
	;; [unrolled: 1-line block ×3, first 2 shown]
	s_waitcnt lgkmcnt(3)
	v_lshrrev_b32_e32 v21, 16, v13
	s_waitcnt lgkmcnt(2)
	v_alignbit_b32 v24, v14, v13, 16
	v_bfi_b32 v13, s2, v13, v14
	s_waitcnt lgkmcnt(0)
	v_perm_b32 v27, v19, v4, s1
	v_perm_b32 v22, v18, v15, s0
	;; [unrolled: 1-line block ×3, first 2 shown]
	v_lshrrev_b32_e32 v26, 16, v4
	v_perm_b32 v28, v19, v4, s0
	v_lshrrev_b32_e32 v25, 16, v19
	s_mov_b32 s7, 0x2b2639e0
	s_movk_i32 s3, 0x3a52
	s_movk_i32 s6, 0x2b26
	s_mov_b32 s9, 0xbb00b70e
	s_mov_b32 s8, 0xb574
	s_waitcnt lgkmcnt(0)
	; wave barrier
	s_waitcnt vmcnt(1)
	v_alignbit_b32 v29, v7, v6, 16
	v_lshrrev_b32_e32 v30, 16, v7
	v_mul_f16_sdwa v32, v9, v18 dst_sel:DWORD dst_unused:UNUSED_PAD src0_sel:WORD_1 src1_sel:WORD_1
	v_bfi_b32 v7, s2, v6, v7
	s_waitcnt vmcnt(0)
	v_perm_b32 v36, v10, v11, s1
	v_mul_f16_sdwa v31, v8, v15 dst_sel:DWORD dst_unused:UNUSED_PAD src0_sel:WORD_1 src1_sel:WORD_1
	v_perm_b32 v33, v9, v8, s0
	v_perm_b32 v34, v9, v8, s1
	;; [unrolled: 1-line block ×3, first 2 shown]
	v_mul_f16_sdwa v4, v11, v4 dst_sel:DWORD dst_unused:UNUSED_PAD src0_sel:WORD_1 src1_sel:DWORD
	v_fma_f16 v9, v9, v18, v32
	v_pk_mul_f16 v18, v29, v13
	v_pk_mul_f16 v7, v7, v13
	;; [unrolled: 1-line block ×3, first 2 shown]
	v_mul_f16_sdwa v19, v10, v19 dst_sel:DWORD dst_unused:UNUSED_PAD src0_sel:WORD_1 src1_sel:DWORD
	v_fma_f16 v8, v8, v15, v31
	v_pk_mul_f16 v15, v34, v22
	v_fma_f16 v4, v11, v26, -v4
	v_fma_f16 v6, v6, v21, -v18
	v_pk_fma_f16 v7, v29, v24, v7
	v_lshrrev_b32_e32 v18, 16, v18
	v_pk_fma_f16 v13, v35, v28, v13
	v_fma_f16 v10, v10, v25, -v19
	v_pk_fma_f16 v11, v33, v23, v15 neg_lo:[0,0,1] neg_hi:[0,0,1]
	v_sub_f16_e32 v15, v9, v8
	v_fma_f16 v14, -v30, v14, v18
	v_pk_add_f16 v18, v7, v13
	v_add_f16_e32 v21, v6, v4
	v_sub_f16_e32 v4, v6, v4
	v_pk_add_f16 v6, v7, v13 neg_lo:[0,1] neg_hi:[0,1]
	v_alignbit_b32 v7, v8, v7, 16
	v_alignbit_b32 v8, v9, v13, 16
	v_add_f16_sdwa v19, v11, v11 dst_sel:DWORD dst_unused:UNUSED_PAD src0_sel:DWORD src1_sel:WORD_1
	v_pack_b32_f16 v9, v10, v11
	v_add_f16_e32 v10, v14, v10
	v_add_f16_sdwa v22, v15, v6 dst_sel:DWORD dst_unused:UNUSED_PAD src0_sel:DWORD src1_sel:WORD_1
	v_lshlrev_b32_e32 v24, 16, v6
	v_pk_add_f16 v7, v7, v8
	v_bfi_b32 v8, s2, v14, v11
	v_sub_f16_e32 v13, v21, v19
	v_sub_f16_sdwa v23, v15, v6 dst_sel:DWORD dst_unused:UNUSED_PAD src0_sel:DWORD src1_sel:WORD_1
	v_sub_f16_e32 v15, v6, v15
	v_add_f16_e32 v11, v10, v21
	v_sub_f16_e32 v14, v10, v21
	v_pk_add_f16 v21, v6, v22
	v_pk_add_f16 v6, v6, v24 neg_lo:[0,1] neg_hi:[0,1]
	v_sub_f16_sdwa v22, v18, v7 dst_sel:DWORD dst_unused:UNUSED_PAD src0_sel:DWORD src1_sel:WORD_1
	v_pack_b32_f16 v24, v18, v7
	v_add_f16_e32 v18, v7, v18
	v_pk_add_f16 v8, v8, v9 neg_lo:[0,1] neg_hi:[0,1]
	v_sub_f16_e32 v10, v19, v10
	v_add_f16_e32 v9, v19, v11
	v_pk_add_f16 v19, v7, v24 neg_lo:[0,1] neg_hi:[0,1]
	v_add_f16_sdwa v7, v7, v18 dst_sel:DWORD dst_unused:UNUSED_PAD src0_sel:WORD_1 src1_sel:DWORD
	v_pack_b32_f16 v26, v4, v8
	v_bfi_b32 v6, s2, v21, v6
	v_add_f16_sdwa v18, v9, v12 dst_sel:DWORD dst_unused:UNUSED_PAD src0_sel:DWORD src1_sel:WORD_1
	v_add_f16_e32 v21, v7, v12
	v_pk_mul_f16 v12, v19, s7
	v_add_f16_sdwa v19, v8, v8 dst_sel:DWORD dst_unused:UNUSED_PAD src0_sel:WORD_1 src1_sel:DWORD
	v_sub_f16_sdwa v24, v4, v8 dst_sel:DWORD dst_unused:UNUSED_PAD src0_sel:DWORD src1_sel:WORD_1
	v_pk_add_f16 v8, v8, v26 neg_lo:[0,1] neg_hi:[0,1]
	s_mov_b32 s0, 0x3846bb00
	v_pk_mul_f16 v8, v8, s0
	s_mov_b32 s0, 0xbcab
	v_mul_f16_e32 v11, 0x2b26, v10
	v_fma_f16 v7, v7, s0, v21
	v_fma_f16 v9, v9, s0, v18
	s_movk_i32 s0, 0x39e0
	v_add_f16_e32 v4, v19, v4
	v_lshrrev_b32_e32 v19, 16, v12
	v_fma_f16 v11, v14, s0, -v11
	s_mov_b32 s0, 0xba52
	v_mul_f16_e32 v13, 0x3a52, v13
	v_fma_f16 v26, v22, s3, v19
	v_sub_f16_e32 v19, v12, v19
	v_fma_f16 v12, v22, s0, -v12
	s_mov_b32 s0, 0xb9e0
	v_mul_f16_e32 v25, 0xb574, v15
	v_pk_mul_f16 v6, v6, s9
	v_fma_f16 v10, v10, s6, v13
	v_fma_f16 v13, v14, s0, -v13
	s_movk_i32 s0, 0x3846
	v_fma_f16 v14, v23, s0, v25
	v_lshrrev_b32_e32 v27, 16, v6
	s_mov_b32 s0, 0xb846
	v_lshrrev_b32_e32 v22, 16, v8
	v_fma_f16 v23, v23, s0, v27
	s_movk_i32 s0, 0x3574
	v_fma_f16 v25, v24, s8, v22
	v_sub_f16_e32 v22, v8, v22
	v_fma_f16 v15, v15, s0, -v27
	v_fma_f16 v8, v24, s0, -v8
	v_add_f16_e32 v10, v10, v9
	v_add_f16_e32 v14, v6, v14
	s_mov_b32 s0, 0xb70e
	v_add_f16_e32 v24, v26, v7
	v_add_f16_e32 v19, v19, v7
	v_add_f16_e32 v11, v11, v9
	v_add_f16_e32 v9, v13, v9
	v_fma_f16 v25, v4, s0, v25
	v_fma_f16 v13, v4, s0, v22
	v_add_f16_e32 v15, v6, v15
	v_sub_f16_e32 v22, v10, v14
	v_add_f16_e32 v14, v14, v10
	v_mov_b32_e32 v10, 2
	v_add_f16_e32 v7, v12, v7
	v_add_f16_e32 v12, v6, v23
	v_fma_f16 v4, v4, s0, v8
	v_add_f16_e32 v8, v25, v24
	v_sub_f16_e32 v26, v9, v15
	v_sub_f16_e32 v27, v19, v13
	v_add_f16_e32 v6, v13, v19
	v_add_f16_e32 v13, v15, v9
	v_mul_u32_u24_e32 v9, 0x134, v17
	v_lshlrev_b32_sdwa v10, v10, v20 dst_sel:DWORD dst_unused:UNUSED_PAD src0_sel:DWORD src1_sel:BYTE_0
	v_add_f16_e32 v23, v4, v7
	v_add_f16_e32 v28, v12, v11
	v_add3_u32 v9, 0, v9, v10
	v_pack_b32_f16 v10, v21, v18
	v_pack_b32_f16 v8, v8, v22
	v_sub_f16_e32 v12, v11, v12
	v_sub_f16_e32 v7, v7, v4
	ds_write2_b32 v9, v10, v8 offset1:11
	v_pack_b32_f16 v8, v23, v26
	v_pack_b32_f16 v10, v27, v28
	v_sub_f16_e32 v4, v24, v25
	ds_write2_b32 v9, v8, v10 offset0:22 offset1:33
	v_pack_b32_f16 v8, v6, v12
	v_pack_b32_f16 v10, v7, v13
	ds_write2_b32 v9, v8, v10 offset0:44 offset1:55
	v_pack_b32_f16 v8, v4, v14
	ds_write_b32 v9, v8 offset:264
	s_waitcnt lgkmcnt(0)
	; wave barrier
	s_waitcnt lgkmcnt(0)
	ds_read2_b32 v[8:9], v16 offset1:77
	ds_read2_b32 v[10:11], v16 offset0:154 offset1:231
	v_cmp_gt_u32_e64 s[0:1], 33, v2
	s_and_saveexec_b64 s[2:3], s[0:1]
	s_cbranch_execz .LBB0_15
; %bb.14:
	v_add_u32_e32 v3, 0x200, v16
	ds_read2_b32 v[6:7], v16 offset0:44 offset1:121
	ds_read2_b32 v[4:5], v3 offset0:70 offset1:147
	s_waitcnt lgkmcnt(1)
	v_lshrrev_b32_e32 v12, 16, v6
	v_lshrrev_b32_e32 v13, 16, v7
	s_waitcnt lgkmcnt(0)
	v_lshrrev_b32_e32 v14, 16, v4
	v_lshrrev_b32_e32 v3, 16, v5
.LBB0_15:
	s_or_b64 exec, exec, s[2:3]
	v_mul_u32_u24_e32 v15, 3, v2
	v_lshlrev_b32_e32 v15, 2, v15
	global_load_dwordx3 v[18:20], v15, s[4:5] offset:264
	s_waitcnt lgkmcnt(0)
	v_lshrrev_b32_e32 v17, 16, v11
	v_lshrrev_b32_e32 v21, 16, v10
	;; [unrolled: 1-line block ×4, first 2 shown]
	s_waitcnt lgkmcnt(0)
	; wave barrier
	s_waitcnt vmcnt(0)
	v_mul_f16_sdwa v23, v18, v22 dst_sel:DWORD dst_unused:UNUSED_PAD src0_sel:WORD_1 src1_sel:DWORD
	v_mul_f16_sdwa v24, v18, v9 dst_sel:DWORD dst_unused:UNUSED_PAD src0_sel:WORD_1 src1_sel:DWORD
	;; [unrolled: 1-line block ×6, first 2 shown]
	v_fma_f16 v9, v18, v9, v23
	v_fma_f16 v18, v18, v22, -v24
	v_fma_f16 v10, v19, v10, v25
	v_fma_f16 v19, v19, v21, -v26
	;; [unrolled: 2-line block ×3, first 2 shown]
	v_sub_f16_e32 v10, v8, v10
	v_sub_f16_e32 v19, v15, v19
	v_sub_f16_e32 v11, v9, v11
	v_sub_f16_e32 v17, v18, v17
	v_fma_f16 v8, v8, 2.0, -v10
	v_fma_f16 v15, v15, 2.0, -v19
	;; [unrolled: 1-line block ×4, first 2 shown]
	v_add_f16_e32 v17, v10, v17
	v_sub_f16_e32 v11, v19, v11
	v_sub_f16_e32 v9, v8, v9
	;; [unrolled: 1-line block ×3, first 2 shown]
	v_fma_f16 v10, v10, 2.0, -v17
	v_fma_f16 v19, v19, 2.0, -v11
	;; [unrolled: 1-line block ×4, first 2 shown]
	v_pack_b32_f16 v10, v10, v19
	v_pack_b32_f16 v8, v8, v15
	;; [unrolled: 1-line block ×4, first 2 shown]
	ds_write2_b32 v16, v8, v10 offset1:77
	ds_write2_b32 v16, v9, v11 offset0:154 offset1:231
	s_and_saveexec_b64 s[2:3], s[0:1]
	s_cbranch_execz .LBB0_17
; %bb.16:
	v_add_u32_e32 v8, 44, v2
	v_subrev_u32_e32 v9, 33, v2
	v_cndmask_b32_e64 v8, v9, v8, s[0:1]
	v_mul_i32_i24_e32 v8, 3, v8
	v_mov_b32_e32 v9, 0
	v_lshl_add_u64 v[8:9], v[8:9], 2, s[4:5]
	global_load_dwordx3 v[8:10], v[8:9], off offset:264
	v_add_u32_e32 v11, 0x200, v16
	s_waitcnt vmcnt(0)
	v_mul_f16_sdwa v15, v14, v9 dst_sel:DWORD dst_unused:UNUSED_PAD src0_sel:DWORD src1_sel:WORD_1
	v_mul_f16_sdwa v17, v7, v8 dst_sel:DWORD dst_unused:UNUSED_PAD src0_sel:DWORD src1_sel:WORD_1
	;; [unrolled: 1-line block ×6, first 2 shown]
	v_fma_f16 v4, v4, v9, v15
	v_fma_f16 v13, v13, v8, -v17
	v_fma_f16 v3, v3, v10, -v18
	;; [unrolled: 1-line block ×3, first 2 shown]
	v_fma_f16 v7, v7, v8, v20
	v_fma_f16 v5, v5, v10, v21
	v_sub_f16_e32 v4, v6, v4
	v_sub_f16_e32 v3, v13, v3
	;; [unrolled: 1-line block ×4, first 2 shown]
	v_add_f16_e32 v9, v4, v3
	v_sub_f16_e32 v10, v8, v5
	v_fma_f16 v6, v6, 2.0, -v4
	v_fma_f16 v5, v7, 2.0, -v5
	;; [unrolled: 1-line block ×4, first 2 shown]
	v_sub_f16_e32 v5, v6, v5
	v_sub_f16_e32 v3, v7, v3
	v_fma_f16 v4, v4, 2.0, -v9
	v_fma_f16 v8, v8, 2.0, -v10
	;; [unrolled: 1-line block ×4, first 2 shown]
	v_pack_b32_f16 v4, v4, v8
	v_pack_b32_f16 v3, v5, v3
	;; [unrolled: 1-line block ×4, first 2 shown]
	ds_write2_b32 v16, v5, v4 offset0:44 offset1:121
	ds_write2_b32 v11, v3, v9 offset0:70 offset1:147
.LBB0_17:
	s_or_b64 exec, exec, s[2:3]
	s_waitcnt lgkmcnt(0)
	; wave barrier
	s_waitcnt lgkmcnt(0)
	ds_read_b32 v6, v16
	v_lshlrev_b32_e32 v3, 2, v2
	v_sub_u32_e32 v8, 0, v3
	v_cmp_ne_u32_e64 s[0:1], 0, v2
                                        ; implicit-def: $vgpr10
                                        ; implicit-def: $vgpr9
                                        ; implicit-def: $vgpr4_vgpr5
	s_and_saveexec_b64 s[2:3], s[0:1]
	s_xor_b64 s[0:1], exec, s[2:3]
	s_cbranch_execz .LBB0_19
; %bb.18:
	v_mov_b32_e32 v3, 0
	v_lshl_add_u64 v[4:5], v[2:3], 2, s[4:5]
	global_load_dword v4, v[4:5], off offset:1188
	ds_read_b32 v5, v8 offset:1232
	s_waitcnt lgkmcnt(0)
	v_add_f16_e32 v7, v5, v6
	v_add_f16_sdwa v9, v5, v6 dst_sel:DWORD dst_unused:UNUSED_PAD src0_sel:WORD_1 src1_sel:WORD_1
	v_sub_f16_e32 v10, v6, v5
	v_sub_f16_sdwa v5, v6, v5 dst_sel:DWORD dst_unused:UNUSED_PAD src0_sel:WORD_1 src1_sel:WORD_1
	v_mul_f16_e32 v6, 0.5, v9
	v_mul_f16_e32 v9, 0.5, v10
	;; [unrolled: 1-line block ×3, first 2 shown]
	s_waitcnt vmcnt(0)
	v_lshrrev_b32_e32 v10, 16, v4
	v_mul_f16_e32 v11, v10, v9
	v_fma_f16 v12, v6, v10, v5
	v_fma_f16 v5, v6, v10, -v5
	v_fma_f16 v10, v7, 0.5, v11
	v_fma_f16 v12, -v4, v9, v12
	v_fma_f16 v7, v7, 0.5, -v11
	v_fma_f16 v5, -v4, v9, v5
	v_fma_f16 v9, v4, v6, v10
	ds_write_b16 v16, v12 offset:2
	v_fma_f16 v10, -v4, v6, v7
	ds_write_b16 v8, v5 offset:1234
	v_mov_b64_e32 v[4:5], v[2:3]
                                        ; implicit-def: $vgpr6
.LBB0_19:
	s_andn2_saveexec_b64 s[0:1], s[0:1]
	s_cbranch_execz .LBB0_21
; %bb.20:
	v_mov_b32_e32 v3, 0
	ds_write_b16 v16, v3 offset:2
	ds_write_b16 v8, v3 offset:1234
	ds_read_u16 v4, v3 offset:618
	s_waitcnt lgkmcnt(3)
	v_add_f16_sdwa v9, v6, v6 dst_sel:DWORD dst_unused:UNUSED_PAD src0_sel:WORD_1 src1_sel:DWORD
	v_sub_f16_sdwa v10, v6, v6 dst_sel:DWORD dst_unused:UNUSED_PAD src0_sel:DWORD src1_sel:WORD_1
	s_waitcnt lgkmcnt(0)
	v_xor_b32_e32 v4, 0x8000, v4
	ds_write_b16 v3, v4 offset:618
	v_mov_b64_e32 v[4:5], 0
.LBB0_21:
	s_or_b64 exec, exec, s[0:1]
	s_add_u32 s0, s4, 0x4a4
	s_addc_u32 s1, s5, 0
	s_waitcnt lgkmcnt(0)
	v_lshl_add_u64 v[6:7], v[4:5], 2, s[0:1]
	global_load_dword v3, v[6:7], off offset:176
	global_load_dword v11, v[6:7], off offset:352
	ds_write_b16 v16, v9
	ds_write_b16 v8, v10 offset:1232
	ds_read_b32 v9, v16 offset:176
	ds_read_b32 v10, v8 offset:1056
	s_mov_b32 s4, 0xffff
	v_cmp_gt_u32_e64 s[0:1], 22, v2
	s_waitcnt lgkmcnt(0)
	v_pk_add_f16 v12, v9, v10 neg_lo:[0,1] neg_hi:[0,1]
	v_pk_add_f16 v9, v9, v10
	s_nop 0
	v_bfi_b32 v10, s4, v12, v9
	v_bfi_b32 v9, s4, v9, v12
	v_pk_mul_f16 v10, v10, 0.5 op_sel_hi:[1,0]
	v_pk_mul_f16 v9, v9, 0.5 op_sel_hi:[1,0]
	s_waitcnt vmcnt(1)
	v_pk_mul_f16 v13, v3, v10 op_sel_hi:[0,1]
	v_pk_fma_f16 v12, v3, v10, v9 op_sel:[1,0,0]
	v_pk_fma_f16 v14, v3, v10, v9 op_sel:[1,0,0] neg_lo:[1,0,0] neg_hi:[1,0,0]
	v_pk_fma_f16 v3, v3, v10, v9 op_sel:[1,0,0] neg_lo:[0,0,1] neg_hi:[0,0,1]
	v_pk_add_f16 v9, v12, v13 op_sel:[0,1] op_sel_hi:[1,0]
	v_pk_add_f16 v10, v12, v13 op_sel:[0,1] op_sel_hi:[1,0] neg_lo:[0,1] neg_hi:[0,1]
	v_pk_add_f16 v12, v14, v13 op_sel:[0,1] op_sel_hi:[1,0] neg_lo:[0,1] neg_hi:[0,1]
	;; [unrolled: 1-line block ×3, first 2 shown]
	v_bfi_b32 v9, s4, v9, v10
	v_bfi_b32 v3, s4, v12, v3
	ds_write_b32 v16, v9 offset:176
	ds_write_b32 v8, v3 offset:1056
	ds_read_b32 v3, v16 offset:352
	ds_read_b32 v9, v8 offset:880
	s_waitcnt lgkmcnt(0)
	v_pk_add_f16 v10, v3, v9 neg_lo:[0,1] neg_hi:[0,1]
	v_pk_add_f16 v3, v3, v9
	s_nop 0
	v_bfi_b32 v9, s4, v10, v3
	v_bfi_b32 v3, s4, v3, v10
	v_pk_mul_f16 v9, v9, 0.5 op_sel_hi:[1,0]
	v_pk_mul_f16 v3, v3, 0.5 op_sel_hi:[1,0]
	s_waitcnt vmcnt(0)
	v_pk_mul_f16 v12, v11, v9 op_sel_hi:[0,1]
	v_pk_fma_f16 v10, v11, v9, v3 op_sel:[1,0,0]
	v_pk_fma_f16 v13, v11, v9, v3 op_sel:[1,0,0] neg_lo:[1,0,0] neg_hi:[1,0,0]
	v_pk_fma_f16 v3, v11, v9, v3 op_sel:[1,0,0] neg_lo:[0,0,1] neg_hi:[0,0,1]
	v_pk_add_f16 v9, v10, v12 op_sel:[0,1] op_sel_hi:[1,0]
	v_pk_add_f16 v10, v10, v12 op_sel:[0,1] op_sel_hi:[1,0] neg_lo:[0,1] neg_hi:[0,1]
	v_pk_add_f16 v11, v13, v12 op_sel:[0,1] op_sel_hi:[1,0] neg_lo:[0,1] neg_hi:[0,1]
	;; [unrolled: 1-line block ×3, first 2 shown]
	v_bfi_b32 v9, s4, v9, v10
	v_bfi_b32 v3, s4, v11, v3
	ds_write_b32 v16, v9 offset:352
	ds_write_b32 v8, v3 offset:880
	s_and_saveexec_b64 s[2:3], s[0:1]
	s_cbranch_execz .LBB0_23
; %bb.22:
	global_load_dword v3, v[6:7], off offset:528
	ds_read_b32 v6, v16 offset:528
	ds_read_b32 v7, v8 offset:704
	s_waitcnt lgkmcnt(0)
	v_pk_add_f16 v9, v6, v7 neg_lo:[0,1] neg_hi:[0,1]
	v_pk_add_f16 v6, v6, v7
	s_nop 0
	v_bfi_b32 v7, s4, v9, v6
	v_bfi_b32 v6, s4, v6, v9
	v_pk_mul_f16 v7, v7, 0.5 op_sel_hi:[1,0]
	v_pk_mul_f16 v6, v6, 0.5 op_sel_hi:[1,0]
	s_waitcnt vmcnt(0)
	v_pk_mul_f16 v10, v3, v7 op_sel_hi:[0,1]
	v_pk_fma_f16 v9, v3, v7, v6 op_sel:[1,0,0]
	v_pk_fma_f16 v11, v3, v7, v6 op_sel:[1,0,0] neg_lo:[1,0,0] neg_hi:[1,0,0]
	v_pk_fma_f16 v3, v3, v7, v6 op_sel:[1,0,0] neg_lo:[0,0,1] neg_hi:[0,0,1]
	v_pk_add_f16 v6, v9, v10 op_sel:[0,1] op_sel_hi:[1,0]
	v_pk_add_f16 v7, v9, v10 op_sel:[0,1] op_sel_hi:[1,0] neg_lo:[0,1] neg_hi:[0,1]
	v_pk_add_f16 v9, v11, v10 op_sel:[0,1] op_sel_hi:[1,0] neg_lo:[0,1] neg_hi:[0,1]
	;; [unrolled: 1-line block ×3, first 2 shown]
	v_bfi_b32 v6, s4, v6, v7
	v_bfi_b32 v3, s4, v9, v3
	ds_write_b32 v16, v6 offset:528
	ds_write_b32 v8, v3 offset:704
.LBB0_23:
	s_or_b64 exec, exec, s[2:3]
	s_waitcnt lgkmcnt(0)
	; wave barrier
	s_waitcnt lgkmcnt(0)
	s_and_saveexec_b64 s[0:1], vcc
	s_cbranch_execz .LBB0_26
; %bb.24:
	ds_read2_b32 v[6:7], v16 offset1:44
	ds_read2_b32 v[8:9], v16 offset0:88 offset1:132
	ds_read2_b32 v[10:11], v16 offset0:176 offset1:220
	v_lshl_add_u64 v[4:5], v[4:5], 2, v[0:1]
	v_cmp_eq_u32_e32 vcc, 43, v2
	s_waitcnt lgkmcnt(2)
	global_store_dword v[4:5], v6, off
	global_store_dword v[4:5], v7, off offset:176
	ds_read_b32 v3, v16 offset:1056
	s_waitcnt lgkmcnt(2)
	global_store_dword v[4:5], v8, off offset:352
	global_store_dword v[4:5], v9, off offset:528
	s_waitcnt lgkmcnt(1)
	global_store_dword v[4:5], v10, off offset:704
	global_store_dword v[4:5], v11, off offset:880
	s_waitcnt lgkmcnt(0)
	global_store_dword v[4:5], v3, off offset:1056
	s_and_b64 exec, exec, vcc
	s_cbranch_execz .LBB0_26
; %bb.25:
	v_mov_b32_e32 v2, 0
	ds_read_b32 v2, v2 offset:1232
	s_waitcnt lgkmcnt(0)
	global_store_dword v[0:1], v2, off offset:1232
.LBB0_26:
	s_endpgm
	.section	.rodata,"a",@progbits
	.p2align	6, 0x0
	.amdhsa_kernel fft_rtc_back_len308_factors_11_7_4_wgs_44_tpt_44_half_ip_CI_unitstride_sbrr_R2C_dirReg
		.amdhsa_group_segment_fixed_size 0
		.amdhsa_private_segment_fixed_size 0
		.amdhsa_kernarg_size 88
		.amdhsa_user_sgpr_count 2
		.amdhsa_user_sgpr_dispatch_ptr 0
		.amdhsa_user_sgpr_queue_ptr 0
		.amdhsa_user_sgpr_kernarg_segment_ptr 1
		.amdhsa_user_sgpr_dispatch_id 0
		.amdhsa_user_sgpr_kernarg_preload_length 0
		.amdhsa_user_sgpr_kernarg_preload_offset 0
		.amdhsa_user_sgpr_private_segment_size 0
		.amdhsa_uses_dynamic_stack 0
		.amdhsa_enable_private_segment 0
		.amdhsa_system_sgpr_workgroup_id_x 1
		.amdhsa_system_sgpr_workgroup_id_y 0
		.amdhsa_system_sgpr_workgroup_id_z 0
		.amdhsa_system_sgpr_workgroup_info 0
		.amdhsa_system_vgpr_workitem_id 0
		.amdhsa_next_free_vgpr 49
		.amdhsa_next_free_sgpr 22
		.amdhsa_accum_offset 52
		.amdhsa_reserve_vcc 1
		.amdhsa_float_round_mode_32 0
		.amdhsa_float_round_mode_16_64 0
		.amdhsa_float_denorm_mode_32 3
		.amdhsa_float_denorm_mode_16_64 3
		.amdhsa_dx10_clamp 1
		.amdhsa_ieee_mode 1
		.amdhsa_fp16_overflow 0
		.amdhsa_tg_split 0
		.amdhsa_exception_fp_ieee_invalid_op 0
		.amdhsa_exception_fp_denorm_src 0
		.amdhsa_exception_fp_ieee_div_zero 0
		.amdhsa_exception_fp_ieee_overflow 0
		.amdhsa_exception_fp_ieee_underflow 0
		.amdhsa_exception_fp_ieee_inexact 0
		.amdhsa_exception_int_div_zero 0
	.end_amdhsa_kernel
	.text
.Lfunc_end0:
	.size	fft_rtc_back_len308_factors_11_7_4_wgs_44_tpt_44_half_ip_CI_unitstride_sbrr_R2C_dirReg, .Lfunc_end0-fft_rtc_back_len308_factors_11_7_4_wgs_44_tpt_44_half_ip_CI_unitstride_sbrr_R2C_dirReg
                                        ; -- End function
	.section	.AMDGPU.csdata,"",@progbits
; Kernel info:
; codeLenInByte = 6108
; NumSgprs: 28
; NumVgprs: 49
; NumAgprs: 0
; TotalNumVgprs: 49
; ScratchSize: 0
; MemoryBound: 0
; FloatMode: 240
; IeeeMode: 1
; LDSByteSize: 0 bytes/workgroup (compile time only)
; SGPRBlocks: 3
; VGPRBlocks: 6
; NumSGPRsForWavesPerEU: 28
; NumVGPRsForWavesPerEU: 49
; AccumOffset: 52
; Occupancy: 8
; WaveLimiterHint : 1
; COMPUTE_PGM_RSRC2:SCRATCH_EN: 0
; COMPUTE_PGM_RSRC2:USER_SGPR: 2
; COMPUTE_PGM_RSRC2:TRAP_HANDLER: 0
; COMPUTE_PGM_RSRC2:TGID_X_EN: 1
; COMPUTE_PGM_RSRC2:TGID_Y_EN: 0
; COMPUTE_PGM_RSRC2:TGID_Z_EN: 0
; COMPUTE_PGM_RSRC2:TIDIG_COMP_CNT: 0
; COMPUTE_PGM_RSRC3_GFX90A:ACCUM_OFFSET: 12
; COMPUTE_PGM_RSRC3_GFX90A:TG_SPLIT: 0
	.text
	.p2alignl 6, 3212836864
	.fill 256, 4, 3212836864
	.type	__hip_cuid_435de65abf447c49,@object ; @__hip_cuid_435de65abf447c49
	.section	.bss,"aw",@nobits
	.globl	__hip_cuid_435de65abf447c49
__hip_cuid_435de65abf447c49:
	.byte	0                               ; 0x0
	.size	__hip_cuid_435de65abf447c49, 1

	.ident	"AMD clang version 19.0.0git (https://github.com/RadeonOpenCompute/llvm-project roc-6.4.0 25133 c7fe45cf4b819c5991fe208aaa96edf142730f1d)"
	.section	".note.GNU-stack","",@progbits
	.addrsig
	.addrsig_sym __hip_cuid_435de65abf447c49
	.amdgpu_metadata
---
amdhsa.kernels:
  - .agpr_count:     0
    .args:
      - .actual_access:  read_only
        .address_space:  global
        .offset:         0
        .size:           8
        .value_kind:     global_buffer
      - .offset:         8
        .size:           8
        .value_kind:     by_value
      - .actual_access:  read_only
        .address_space:  global
        .offset:         16
        .size:           8
        .value_kind:     global_buffer
      - .actual_access:  read_only
        .address_space:  global
        .offset:         24
        .size:           8
        .value_kind:     global_buffer
      - .offset:         32
        .size:           8
        .value_kind:     by_value
      - .actual_access:  read_only
        .address_space:  global
        .offset:         40
        .size:           8
        .value_kind:     global_buffer
      - .actual_access:  read_only
        .address_space:  global
        .offset:         48
        .size:           8
        .value_kind:     global_buffer
      - .offset:         56
        .size:           4
        .value_kind:     by_value
      - .actual_access:  read_only
        .address_space:  global
        .offset:         64
        .size:           8
        .value_kind:     global_buffer
      - .actual_access:  read_only
        .address_space:  global
        .offset:         72
        .size:           8
        .value_kind:     global_buffer
      - .address_space:  global
        .offset:         80
        .size:           8
        .value_kind:     global_buffer
    .group_segment_fixed_size: 0
    .kernarg_segment_align: 8
    .kernarg_segment_size: 88
    .language:       OpenCL C
    .language_version:
      - 2
      - 0
    .max_flat_workgroup_size: 44
    .name:           fft_rtc_back_len308_factors_11_7_4_wgs_44_tpt_44_half_ip_CI_unitstride_sbrr_R2C_dirReg
    .private_segment_fixed_size: 0
    .sgpr_count:     28
    .sgpr_spill_count: 0
    .symbol:         fft_rtc_back_len308_factors_11_7_4_wgs_44_tpt_44_half_ip_CI_unitstride_sbrr_R2C_dirReg.kd
    .uniform_work_group_size: 1
    .uses_dynamic_stack: false
    .vgpr_count:     49
    .vgpr_spill_count: 0
    .wavefront_size: 64
amdhsa.target:   amdgcn-amd-amdhsa--gfx950
amdhsa.version:
  - 1
  - 2
...

	.end_amdgpu_metadata
